;; amdgpu-corpus repo=zjin-lcf/HeCBench kind=compiled arch=gfx1100 opt=O3
	.text
	.amdgcn_target "amdgcn-amd-amdhsa--gfx1100"
	.amdhsa_code_object_version 6
	.protected	_Z9calc_tempiPKfS0_Pfiiiifffff ; -- Begin function _Z9calc_tempiPKfS0_Pfiiiifffff
	.globl	_Z9calc_tempiPKfS0_Pfiiiifffff
	.p2align	8
	.type	_Z9calc_tempiPKfS0_Pfiiiifffff,@function
_Z9calc_tempiPKfS0_Pfiiiifffff:         ; @_Z9calc_tempiPKfS0_Pfiiiifffff
; %bb.0:
	s_clause 0x1
	s_load_b32 s5, s[0:1], 0x0
	s_load_b256 s[16:23], s[0:1], 0x20
	v_and_b32_e32 v3, 0x3ff, v0
	v_bfe_u32 v2, v0, 10, 10
	s_waitcnt lgkmcnt(0)
	s_lshl_b32 s2, s5, 1
	s_delay_alu instid0(SALU_CYCLE_1) | instskip(NEXT) | instid1(SALU_CYCLE_1)
	s_sub_i32 s2, 16, s2
	s_mul_i32 s3, s2, s14
	s_mul_i32 s2, s2, s15
	s_sub_i32 s9, s3, s18
	s_sub_i32 s8, s2, s19
	v_add_nc_u32_e32 v4, s9, v3
	v_add_nc_u32_e32 v5, s8, v2
	s_delay_alu instid0(VALU_DEP_2) | instskip(SKIP_1) | instid1(VALU_DEP_3)
	v_cmp_lt_i32_e32 vcc_lo, -1, v4
	v_cmp_gt_i32_e64 s2, s16, v4
	v_cmp_gt_i32_e64 s3, s17, v5
	v_mad_u64_u32 v[0:1], null, v5, s16, v[4:5]
	v_cmp_lt_i32_e64 s4, -1, v5
	s_delay_alu instid0(VALU_DEP_4)
	s_and_b32 s2, vcc_lo, s2
	v_lshlrev_b32_e32 v4, 2, v3
	s_and_b32 s2, s3, s2
	s_delay_alu instid0(VALU_DEP_2) | instid1(SALU_CYCLE_1)
	s_and_b32 s3, s4, s2
	s_delay_alu instid0(SALU_CYCLE_1)
	s_and_saveexec_b32 s2, s3
	s_cbranch_execz .LBB0_2
; %bb.1:
	s_load_b128 s[12:15], s[0:1], 0x8
	v_ashrrev_i32_e32 v1, 31, v0
	s_delay_alu instid0(VALU_DEP_1) | instskip(SKIP_1) | instid1(VALU_DEP_1)
	v_lshlrev_b64 v[5:6], 2, v[0:1]
	s_waitcnt lgkmcnt(0)
	v_add_co_u32 v7, vcc_lo, s14, v5
	s_delay_alu instid0(VALU_DEP_2)
	v_add_co_ci_u32_e32 v8, vcc_lo, s15, v6, vcc_lo
	v_add_co_u32 v5, vcc_lo, s12, v5
	v_add_co_ci_u32_e32 v6, vcc_lo, s13, v6, vcc_lo
	global_load_b32 v1, v[7:8], off
	global_load_b32 v5, v[5:6], off
	v_lshl_add_u32 v6, v2, 6, v4
	s_waitcnt vmcnt(0)
	ds_store_2addr_stride64_b32 v6, v1, v5 offset1:4
.LBB0_2:
	s_or_b32 exec_lo, exec_lo, s2
	s_load_b64 s[6:7], s[0:1], 0x18
	s_cmp_lt_i32 s5, 1
	s_waitcnt lgkmcnt(0)
	s_barrier
	buffer_gl0_inv
	s_cbranch_scc1 .LBB0_16
; %bb.3:
	s_load_b32 s3, s[0:1], 0x40
	v_div_scale_f32 v1, null, s21, s21, 1.0
	v_div_scale_f32 v6, null, s22, s22, 1.0
	;; [unrolled: 1-line block ×3, first 2 shown]
	s_delay_alu instid0(VALU_DEP_3) | instskip(NEXT) | instid1(VALU_DEP_2)
	v_rcp_f32_e32 v13, v1
	v_rcp_f32_e32 v14, v6
	s_not_b32 s11, s9
	s_delay_alu instid0(VALU_DEP_1)
	v_rcp_f32_e32 v15, v8
	s_add_i32 s10, s9, 15
	v_div_scale_f32 v5, s0, 1.0, s21, 1.0
	s_add_i32 s4, s8, 15
	s_add_i32 s11, s11, s16
	s_cmp_ge_i32 s10, s16
	s_delay_alu instid0(TRANS32_DEP_3)
	v_fma_f32 v18, -v1, v13, 1.0
	v_add_nc_u32_e32 v10, 1, v3
	s_waitcnt_depctr 0xfff
	v_fma_f32 v19, -v6, v14, 1.0
	s_waitcnt lgkmcnt(0)
	v_div_scale_f32 v12, null, s20, s20, s3
	v_fmac_f32_e32 v13, v18, v13
	v_fma_f32 v20, -v8, v15, 1.0
	s_cselect_b32 s10, s11, 15
	s_delay_alu instid0(VALU_DEP_3)
	v_rcp_f32_e32 v16, v12
	v_div_scale_f32 v7, s1, 1.0, s22, 1.0
	v_div_scale_f32 v9, s2, 1.0, s23, 1.0
	v_dual_fmac_f32 v14, v19, v14 :: v_dual_add_nc_u32 v11, -1, v3
	v_div_scale_f32 v22, vcc_lo, s3, s20, s3
	v_fmac_f32_e32 v15, v20, v15
	s_waitcnt_depctr 0xfff
	v_fma_f32 v21, -v12, v16, 1.0
	v_add_nc_u32_e32 v17, 1, v2
	v_min_i32_e32 v18, s10, v10
	v_dual_mul_f32 v10, v5, v13 :: v_dual_mul_f32 v19, v7, v14
	v_mul_f32_e32 v20, v9, v15
	v_fmac_f32_e32 v16, v21, v16
	s_sub_i32 s11, 0, s9
	s_delay_alu instid0(VALU_DEP_3) | instskip(SKIP_4) | instid1(VALU_DEP_3)
	v_fma_f32 v23, -v1, v10, v5
	v_fma_f32 v24, -v6, v19, v7
	;; [unrolled: 1-line block ×3, first 2 shown]
	v_mul_f32_e32 v21, v22, v16
	s_ashr_i32 s9, s9, 31
	v_dual_fmac_f32 v10, v23, v13 :: v_dual_fmac_f32 v19, v24, v14
	s_delay_alu instid0(VALU_DEP_3) | instskip(NEXT) | instid1(VALU_DEP_3)
	v_fmac_f32_e32 v20, v25, v15
	v_fma_f32 v26, -v12, v21, v22
	s_not_b32 s12, s8
	s_delay_alu instid0(VALU_DEP_3)
	v_fma_f32 v1, -v1, v10, v5
	v_fma_f32 v5, -v6, v19, v7
	;; [unrolled: 1-line block ×3, first 2 shown]
	v_dual_fmac_f32 v21, v26, v16 :: v_dual_add_nc_u32 v8, -1, v2
	s_and_b32 s9, s9, s11
	s_add_i32 s12, s12, s17
	s_cmp_ge_i32 s4, s17
	s_delay_alu instid0(VALU_DEP_1) | instskip(SKIP_2) | instid1(VALU_DEP_1)
	v_fma_f32 v7, -v12, v21, v22
	s_cselect_b32 s4, s12, 15
	s_sub_i32 s11, 0, s8
	v_div_fmas_f32 v7, v7, v16, v21
	s_mov_b32 vcc_lo, s0
	s_ashr_i32 s0, s8, 31
	v_div_fmas_f32 v9, v1, v13, v10
	s_mov_b32 vcc_lo, s1
	v_lshlrev_b32_e32 v13, 6, v2
	v_div_fmas_f32 v10, v5, v14, v19
	s_mov_b32 vcc_lo, s2
	s_and_b32 s2, s0, s11
	v_div_fmas_f32 v12, v6, v15, v20
	v_max_i32_e32 v14, s9, v11
	v_div_fixup_f32 v6, v10, s22, 1.0
	v_min_i32_e32 v10, s4, v17
	v_max_i32_e32 v11, s2, v8
	v_add_nc_u32_e32 v8, v13, v4
	v_div_fixup_f32 v1, v7, s20, s3
	v_div_fixup_f32 v5, v9, s21, 1.0
	v_div_fixup_f32 v7, v12, s23, 1.0
	v_cmp_gt_i32_e64 s0, s9, v3
	v_cmp_lt_i32_e64 s1, s10, v3
	v_cmp_gt_i32_e64 s2, s2, v2
	v_cmp_lt_i32_e64 s3, s4, v2
	v_add_nc_u32_e32 v9, 0x400, v8
	v_lshl_add_u32 v10, v10, 6, v4
	v_lshl_add_u32 v11, v11, 6, v4
	v_lshl_add_u32 v12, v18, 2, v13
	v_lshl_add_u32 v13, v14, 2, v13
	v_add_nc_u32_e32 v14, 0x800, v8
	v_max_i32_e32 v15, v3, v2
	s_mov_b32 s9, 0
	s_add_i32 s8, s5, -1
	s_mov_b32 s10, 14
                                        ; implicit-def: $sgpr5
	s_branch .LBB0_5
.LBB0_4:                                ;   in Loop: Header=BB0_5 Depth=1
	s_or_b32 exec_lo, exec_lo, s11
	s_add_i32 s10, s10, -1
	s_add_i32 s9, s9, 1
	s_and_not1_b32 s5, s5, exec_lo
	s_waitcnt lgkmcnt(0)
	s_barrier
	buffer_gl0_inv
.LBB0_5:                                ; =>This Inner Loop Header: Depth=1
	s_mov_b32 s4, 0
	s_mov_b32 s11, exec_lo
	v_cmpx_lt_u32_e64 s9, v3
	s_cbranch_execz .LBB0_9
; %bb.6:                                ;   in Loop: Header=BB0_5 Depth=1
	v_cmp_ge_u32_e32 vcc_lo, s9, v2
	v_cmp_lt_i32_e64 s4, s10, v15
	s_delay_alu instid0(VALU_DEP_1) | instskip(NEXT) | instid1(SALU_CYCLE_1)
	s_or_b32 s4, s4, vcc_lo
	s_or_b32 s4, s4, s0
	s_delay_alu instid0(SALU_CYCLE_1) | instskip(NEXT) | instid1(SALU_CYCLE_1)
	s_or_b32 s4, s4, s1
	s_or_b32 s4, s4, s2
	s_delay_alu instid0(SALU_CYCLE_1) | instskip(NEXT) | instid1(SALU_CYCLE_1)
	s_or_b32 s4, s4, s3
	s_xor_b32 s13, s4, -1
	s_mov_b32 s4, 0
	s_and_saveexec_b32 s12, s13
	s_cbranch_execz .LBB0_8
; %bb.7:                                ;   in Loop: Header=BB0_5 Depth=1
	ds_load_b32 v16, v10
	ds_load_b32 v17, v11
	;; [unrolled: 1-line block ×6, first 2 shown]
	s_mov_b32 s4, exec_lo
	s_waitcnt lgkmcnt(2)
	v_dual_add_f32 v16, v16, v17 :: v_dual_add_f32 v17, v18, v19
	s_waitcnt lgkmcnt(1)
	s_delay_alu instid0(VALU_DEP_1) | instskip(NEXT) | instid1(VALU_DEP_2)
	v_fmac_f32_e32 v17, -2.0, v20
	v_fmac_f32_e32 v16, -2.0, v20
	s_waitcnt lgkmcnt(0)
	s_delay_alu instid0(VALU_DEP_1) | instskip(NEXT) | instid1(VALU_DEP_1)
	v_fmac_f32_e32 v21, v6, v16
	v_dual_sub_f32 v16, 0x42a00000, v20 :: v_dual_fmac_f32 v21, v5, v17
	s_delay_alu instid0(VALU_DEP_1) | instskip(NEXT) | instid1(VALU_DEP_1)
	v_fmac_f32_e32 v21, v7, v16
	v_fmac_f32_e32 v20, v1, v21
	ds_store_b32 v14, v20
.LBB0_8:                                ;   in Loop: Header=BB0_5 Depth=1
	s_or_b32 exec_lo, exec_lo, s12
	s_delay_alu instid0(SALU_CYCLE_1)
	s_and_b32 s4, s4, exec_lo
.LBB0_9:                                ;   in Loop: Header=BB0_5 Depth=1
	s_or_b32 exec_lo, exec_lo, s11
	s_delay_alu instid0(SALU_CYCLE_1)
	s_and_not1_b32 s5, s5, exec_lo
	s_and_b32 s11, s4, exec_lo
	s_waitcnt lgkmcnt(0)
	s_or_b32 s5, s5, s11
	s_cmp_eq_u32 s8, s9
	s_mov_b32 s11, -1
	s_barrier
	buffer_gl0_inv
	s_cbranch_scc1 .LBB0_12
; %bb.10:                               ;   in Loop: Header=BB0_5 Depth=1
	s_and_saveexec_b32 s11, s4
	s_cbranch_execz .LBB0_4
; %bb.11:                               ;   in Loop: Header=BB0_5 Depth=1
	ds_load_b32 v16, v14
	s_waitcnt lgkmcnt(0)
	ds_store_b32 v8, v16
	s_branch .LBB0_4
.LBB0_12:                               ;   in Loop: Header=BB0_5 Depth=1
                                        ; implicit-def: $sgpr9
                                        ; implicit-def: $sgpr10
	s_and_b32 vcc_lo, exec_lo, s11
	s_cbranch_vccz .LBB0_5
; %bb.13:
	s_and_saveexec_b32 s0, s5
	s_cbranch_execz .LBB0_15
.LBB0_14:
	v_lshl_add_u32 v1, v2, 6, v4
	ds_load_b32 v2, v1 offset:2048
	v_ashrrev_i32_e32 v1, 31, v0
	s_delay_alu instid0(VALU_DEP_1) | instskip(NEXT) | instid1(VALU_DEP_1)
	v_lshlrev_b64 v[0:1], 2, v[0:1]
	v_add_co_u32 v0, vcc_lo, s6, v0
	s_delay_alu instid0(VALU_DEP_2)
	v_add_co_ci_u32_e32 v1, vcc_lo, s7, v1, vcc_lo
	s_waitcnt lgkmcnt(0)
	global_store_b32 v[0:1], v2, off
.LBB0_15:
	s_nop 0
	s_sendmsg sendmsg(MSG_DEALLOC_VGPRS)
	s_endpgm
.LBB0_16:
                                        ; implicit-def: $sgpr5
	s_and_saveexec_b32 s0, s5
	s_cbranch_execnz .LBB0_14
	s_branch .LBB0_15
	.section	.rodata,"a",@progbits
	.p2align	6, 0x0
	.amdhsa_kernel _Z9calc_tempiPKfS0_Pfiiiifffff
		.amdhsa_group_segment_fixed_size 3072
		.amdhsa_private_segment_fixed_size 0
		.amdhsa_kernarg_size 68
		.amdhsa_user_sgpr_count 14
		.amdhsa_user_sgpr_dispatch_ptr 0
		.amdhsa_user_sgpr_queue_ptr 0
		.amdhsa_user_sgpr_kernarg_segment_ptr 1
		.amdhsa_user_sgpr_dispatch_id 0
		.amdhsa_user_sgpr_private_segment_size 0
		.amdhsa_wavefront_size32 1
		.amdhsa_uses_dynamic_stack 0
		.amdhsa_enable_private_segment 0
		.amdhsa_system_sgpr_workgroup_id_x 1
		.amdhsa_system_sgpr_workgroup_id_y 1
		.amdhsa_system_sgpr_workgroup_id_z 0
		.amdhsa_system_sgpr_workgroup_info 0
		.amdhsa_system_vgpr_workitem_id 1
		.amdhsa_next_free_vgpr 27
		.amdhsa_next_free_sgpr 24
		.amdhsa_reserve_vcc 1
		.amdhsa_float_round_mode_32 0
		.amdhsa_float_round_mode_16_64 0
		.amdhsa_float_denorm_mode_32 3
		.amdhsa_float_denorm_mode_16_64 3
		.amdhsa_dx10_clamp 1
		.amdhsa_ieee_mode 1
		.amdhsa_fp16_overflow 0
		.amdhsa_workgroup_processor_mode 1
		.amdhsa_memory_ordered 1
		.amdhsa_forward_progress 0
		.amdhsa_shared_vgpr_count 0
		.amdhsa_exception_fp_ieee_invalid_op 0
		.amdhsa_exception_fp_denorm_src 0
		.amdhsa_exception_fp_ieee_div_zero 0
		.amdhsa_exception_fp_ieee_overflow 0
		.amdhsa_exception_fp_ieee_underflow 0
		.amdhsa_exception_fp_ieee_inexact 0
		.amdhsa_exception_int_div_zero 0
	.end_amdhsa_kernel
	.text
.Lfunc_end0:
	.size	_Z9calc_tempiPKfS0_Pfiiiifffff, .Lfunc_end0-_Z9calc_tempiPKfS0_Pfiiiifffff
                                        ; -- End function
	.section	.AMDGPU.csdata,"",@progbits
; Kernel info:
; codeLenInByte = 1264
; NumSgprs: 26
; NumVgprs: 27
; ScratchSize: 0
; MemoryBound: 0
; FloatMode: 240
; IeeeMode: 1
; LDSByteSize: 3072 bytes/workgroup (compile time only)
; SGPRBlocks: 3
; VGPRBlocks: 3
; NumSGPRsForWavesPerEU: 26
; NumVGPRsForWavesPerEU: 27
; Occupancy: 16
; WaveLimiterHint : 0
; COMPUTE_PGM_RSRC2:SCRATCH_EN: 0
; COMPUTE_PGM_RSRC2:USER_SGPR: 14
; COMPUTE_PGM_RSRC2:TRAP_HANDLER: 0
; COMPUTE_PGM_RSRC2:TGID_X_EN: 1
; COMPUTE_PGM_RSRC2:TGID_Y_EN: 1
; COMPUTE_PGM_RSRC2:TGID_Z_EN: 0
; COMPUTE_PGM_RSRC2:TIDIG_COMP_CNT: 1
	.text
	.p2alignl 7, 3214868480
	.fill 96, 4, 3214868480
	.type	__hip_cuid_e21539c97cce033f,@object ; @__hip_cuid_e21539c97cce033f
	.section	.bss,"aw",@nobits
	.globl	__hip_cuid_e21539c97cce033f
__hip_cuid_e21539c97cce033f:
	.byte	0                               ; 0x0
	.size	__hip_cuid_e21539c97cce033f, 1

	.ident	"AMD clang version 19.0.0git (https://github.com/RadeonOpenCompute/llvm-project roc-6.4.0 25133 c7fe45cf4b819c5991fe208aaa96edf142730f1d)"
	.section	".note.GNU-stack","",@progbits
	.addrsig
	.addrsig_sym __hip_cuid_e21539c97cce033f
	.amdgpu_metadata
---
amdhsa.kernels:
  - .args:
      - .offset:         0
        .size:           4
        .value_kind:     by_value
      - .actual_access:  read_only
        .address_space:  global
        .offset:         8
        .size:           8
        .value_kind:     global_buffer
      - .actual_access:  read_only
        .address_space:  global
        .offset:         16
        .size:           8
        .value_kind:     global_buffer
      - .actual_access:  write_only
        .address_space:  global
        .offset:         24
        .size:           8
        .value_kind:     global_buffer
      - .offset:         32
        .size:           4
        .value_kind:     by_value
      - .offset:         36
        .size:           4
        .value_kind:     by_value
      - .offset:         40
        .size:           4
        .value_kind:     by_value
      - .offset:         44
        .size:           4
        .value_kind:     by_value
      - .offset:         48
        .size:           4
        .value_kind:     by_value
      - .offset:         52
        .size:           4
        .value_kind:     by_value
      - .offset:         56
        .size:           4
        .value_kind:     by_value
      - .offset:         60
        .size:           4
        .value_kind:     by_value
      - .offset:         64
        .size:           4
        .value_kind:     by_value
    .group_segment_fixed_size: 3072
    .kernarg_segment_align: 8
    .kernarg_segment_size: 68
    .language:       OpenCL C
    .language_version:
      - 2
      - 0
    .max_flat_workgroup_size: 1024
    .name:           _Z9calc_tempiPKfS0_Pfiiiifffff
    .private_segment_fixed_size: 0
    .sgpr_count:     26
    .sgpr_spill_count: 0
    .symbol:         _Z9calc_tempiPKfS0_Pfiiiifffff.kd
    .uniform_work_group_size: 1
    .uses_dynamic_stack: false
    .vgpr_count:     27
    .vgpr_spill_count: 0
    .wavefront_size: 32
    .workgroup_processor_mode: 1
amdhsa.target:   amdgcn-amd-amdhsa--gfx1100
amdhsa.version:
  - 1
  - 2
...

	.end_amdgpu_metadata
